;; amdgpu-corpus repo=zjin-lcf/HeCBench kind=compiled arch=gfx906 opt=O3
	.amdgcn_target "amdgcn-amd-amdhsa--gfx906"
	.amdhsa_code_object_version 6
	.text
	.protected	_Z13device_memsetPfi    ; -- Begin function _Z13device_memsetPfi
	.globl	_Z13device_memsetPfi
	.p2align	8
	.type	_Z13device_memsetPfi,@function
_Z13device_memsetPfi:                   ; @_Z13device_memsetPfi
; %bb.0:
	s_load_dword s0, s[4:5], 0x1c
	s_load_dword s1, s[4:5], 0x8
	s_waitcnt lgkmcnt(0)
	s_and_b32 s0, s0, 0xffff
	s_mul_i32 s6, s6, s0
	v_add_u32_e32 v0, s6, v0
	v_cmp_gt_i32_e32 vcc, s1, v0
	s_and_saveexec_b64 s[0:1], vcc
	s_cbranch_execz .LBB0_2
; %bb.1:
	s_load_dwordx2 s[0:1], s[4:5], 0x0
	v_ashrrev_i32_e32 v1, 31, v0
	v_lshlrev_b64 v[0:1], 2, v[0:1]
	s_waitcnt lgkmcnt(0)
	v_mov_b32_e32 v2, s1
	v_add_co_u32_e32 v0, vcc, s0, v0
	v_addc_co_u32_e32 v1, vcc, v2, v1, vcc
	v_mov_b32_e32 v2, 0
	global_store_dword v[0:1], v2, off
.LBB0_2:
	s_endpgm
	.section	.rodata,"a",@progbits
	.p2align	6, 0x0
	.amdhsa_kernel _Z13device_memsetPfi
		.amdhsa_group_segment_fixed_size 0
		.amdhsa_private_segment_fixed_size 0
		.amdhsa_kernarg_size 272
		.amdhsa_user_sgpr_count 6
		.amdhsa_user_sgpr_private_segment_buffer 1
		.amdhsa_user_sgpr_dispatch_ptr 0
		.amdhsa_user_sgpr_queue_ptr 0
		.amdhsa_user_sgpr_kernarg_segment_ptr 1
		.amdhsa_user_sgpr_dispatch_id 0
		.amdhsa_user_sgpr_flat_scratch_init 0
		.amdhsa_user_sgpr_private_segment_size 0
		.amdhsa_uses_dynamic_stack 0
		.amdhsa_system_sgpr_private_segment_wavefront_offset 0
		.amdhsa_system_sgpr_workgroup_id_x 1
		.amdhsa_system_sgpr_workgroup_id_y 0
		.amdhsa_system_sgpr_workgroup_id_z 0
		.amdhsa_system_sgpr_workgroup_info 0
		.amdhsa_system_vgpr_workitem_id 0
		.amdhsa_next_free_vgpr 3
		.amdhsa_next_free_sgpr 7
		.amdhsa_reserve_vcc 1
		.amdhsa_reserve_flat_scratch 0
		.amdhsa_float_round_mode_32 0
		.amdhsa_float_round_mode_16_64 0
		.amdhsa_float_denorm_mode_32 3
		.amdhsa_float_denorm_mode_16_64 3
		.amdhsa_dx10_clamp 1
		.amdhsa_ieee_mode 1
		.amdhsa_fp16_overflow 0
		.amdhsa_exception_fp_ieee_invalid_op 0
		.amdhsa_exception_fp_denorm_src 0
		.amdhsa_exception_fp_ieee_div_zero 0
		.amdhsa_exception_fp_ieee_overflow 0
		.amdhsa_exception_fp_ieee_underflow 0
		.amdhsa_exception_fp_ieee_inexact 0
		.amdhsa_exception_int_div_zero 0
	.end_amdhsa_kernel
	.text
.Lfunc_end0:
	.size	_Z13device_memsetPfi, .Lfunc_end0-_Z13device_memsetPfi
                                        ; -- End function
	.set _Z13device_memsetPfi.num_vgpr, 3
	.set _Z13device_memsetPfi.num_agpr, 0
	.set _Z13device_memsetPfi.numbered_sgpr, 7
	.set _Z13device_memsetPfi.num_named_barrier, 0
	.set _Z13device_memsetPfi.private_seg_size, 0
	.set _Z13device_memsetPfi.uses_vcc, 1
	.set _Z13device_memsetPfi.uses_flat_scratch, 0
	.set _Z13device_memsetPfi.has_dyn_sized_stack, 0
	.set _Z13device_memsetPfi.has_recursion, 0
	.set _Z13device_memsetPfi.has_indirect_call, 0
	.section	.AMDGPU.csdata,"",@progbits
; Kernel info:
; codeLenInByte = 100
; TotalNumSgprs: 11
; NumVgprs: 3
; ScratchSize: 0
; MemoryBound: 0
; FloatMode: 240
; IeeeMode: 1
; LDSByteSize: 0 bytes/workgroup (compile time only)
; SGPRBlocks: 1
; VGPRBlocks: 0
; NumSGPRsForWavesPerEU: 11
; NumVGPRsForWavesPerEU: 3
; Occupancy: 10
; WaveLimiterHint : 0
; COMPUTE_PGM_RSRC2:SCRATCH_EN: 0
; COMPUTE_PGM_RSRC2:USER_SGPR: 6
; COMPUTE_PGM_RSRC2:TRAP_HANDLER: 0
; COMPUTE_PGM_RSRC2:TGID_X_EN: 1
; COMPUTE_PGM_RSRC2:TGID_Y_EN: 0
; COMPUTE_PGM_RSRC2:TGID_Z_EN: 0
; COMPUTE_PGM_RSRC2:TIDIG_COMP_CNT: 0
	.text
	.protected	_Z11device_cbowiiiiiiiPKiS0_PfS1_Pj ; -- Begin function _Z11device_cbowiiiiiiiPKiS0_PfS1_Pj
	.globl	_Z11device_cbowiiiiiiiPKiS0_PfS1_Pj
	.p2align	8
	.type	_Z11device_cbowiiiiiiiPKiS0_PfS1_Pj,@function
_Z11device_cbowiiiiiiiPKiS0_PfS1_Pj:    ; @_Z11device_cbowiiiiiiiPKiS0_PfS1_Pj
; %bb.0:
	s_load_dword s0, s[4:5], 0x54
	v_lshrrev_b32_e32 v12, 7, v0
	s_waitcnt lgkmcnt(0)
	s_bfe_u32 s7, s0, 0x90007
	s_mul_i32 s6, s6, s7
	v_add_u32_e32 v1, s6, v12
	s_movk_i32 s0, 0x400
	v_cmp_gt_i32_e32 vcc, s0, v1
	s_and_saveexec_b64 s[0:1], vcc
	s_cbranch_execz .LBB1_58
; %bb.1:
	s_load_dwordx2 s[0:1], s[4:5], 0x40
	s_load_dwordx4 s[20:23], s[4:5], 0x0
	v_ashrrev_i32_e32 v2, 31, v1
	v_lshlrev_b64 v[2:3], 2, v[1:2]
	v_and_b32_e32 v27, 0x7f, v0
	s_waitcnt lgkmcnt(0)
	v_mov_b32_e32 v4, s1
	v_add_co_u32_e32 v2, vcc, s0, v2
	v_addc_co_u32_e32 v3, vcc, v4, v3, vcc
	global_load_dword v26, v[2:3], off
	s_cmp_lt_i32 s20, 1
	s_cbranch_scc1 .LBB1_56
; %bb.2:
	v_cvt_f32_u32_e32 v8, s23
	s_load_dwordx8 s[12:19], s[4:5], 0x10
	s_load_dwordx4 s[24:27], s[4:5], 0x30
	s_mov_b64 s[2:3], src_shared_base
	s_lshl_b32 s2, s23, 1
	v_rcp_iflag_f32_e32 v10, v8
	s_waitcnt lgkmcnt(0)
	v_cvt_f32_u32_e32 v11, s13
	s_or_b32 s33, s2, 1
	s_cmp_gt_i32 s12, 0
	v_mul_f32_e32 v10, 0x4f7ffffe, v10
	s_cselect_b64 s[28:29], -1, 0
	s_add_i32 s44, s14, -1
	v_cvt_u32_f32_e32 v15, v10
	v_rcp_iflag_f32_e32 v10, v11
	v_cvt_f32_u32_e32 v13, s44
	s_sub_i32 s6, 0, s23
	v_and_b32_e32 v0, 0x380, v0
	v_mul_f32_e32 v10, 0x4f7ffffe, v10
	v_rcp_iflag_f32_e32 v11, v13
	v_cvt_u32_f32_e32 v16, v10
	v_mul_lo_u32 v13, s6, v15
	s_sub_i32 s6, 0, s13
	v_mul_f32_e32 v10, 0x4f7ffffe, v11
	v_mul_lo_u32 v11, s6, v16
	v_cvt_u32_f32_e32 v17, v10
	v_mul_hi_u32 v13, v15, v13
	s_sub_i32 s6, 1, s14
	v_mul_hi_u32 v19, v16, v11
	v_mul_lo_u32 v18, s6, v17
	s_lshl_b32 s6, s7, 2
	v_add_u32_e32 v28, v15, v13
	v_lshl_add_u32 v13, v12, 2, s6
	v_add_u32_e32 v29, v16, v19
	v_mul_lo_u32 v15, s22, v13
	v_mul_lo_u32 v16, s22, v12
	v_mul_hi_u32 v18, v17, v18
	v_lshlrev_b32_e32 v14, 2, v27
	v_lshl_add_u32 v0, v0, 2, 0
	v_add3_u32 v20, v15, v14, 0
	v_lshlrev_b32_e32 v15, 2, v16
	s_mov_b32 s11, 0
	v_cmp_le_i32_e32 vcc, s21, v27
	v_add_u32_e32 v4, v0, v14
	v_mov_b32_e32 v5, s3
	v_add3_u32 v21, v15, v14, 0
	v_cmp_gt_i32_e64 s[0:1], s21, v27
	v_cmp_gt_u32_e64 s[2:3], 64, v27
	v_add_u32_e32 v6, 0x100, v4
	v_mov_b32_e32 v7, v5
	v_cmp_gt_u32_e64 s[4:5], 32, v27
	v_add_u32_e32 v8, 0x80, v4
	v_mov_b32_e32 v9, v5
	v_add_u32_e32 v10, 64, v4
	v_mov_b32_e32 v11, v5
	v_add_u32_e32 v30, v17, v18
	v_add_u32_e32 v12, 32, v4
	v_mov_b32_e32 v13, v5
	v_add_u32_e32 v14, 16, v4
	v_mov_b32_e32 v15, v5
	v_add_u32_e32 v16, 8, v4
	v_mov_b32_e32 v17, v5
	v_add_u32_e32 v18, 4, v4
	v_mov_b32_e32 v19, v5
	v_add_u32_e32 v31, 0x200, v20
	v_add_u32_e32 v32, 0x200, v21
	s_mov_b32 s45, 0x19660d
	s_movk_i32 s46, 0x400
	s_mov_b32 s47, 0x40c00000
	s_mov_b32 s48, 0xc0c00000
	s_xor_b64 s[14:15], vcc, -1
	s_mov_b32 s10, s11
	v_subrev_u32_e32 v33, s23, v1
	v_mov_b32_e32 v21, 0
	s_branch .LBB1_5
.LBB1_3:                                ;   in Loop: Header=BB1_5 Depth=1
	s_or_b64 exec, exec, s[30:31]
.LBB1_4:                                ;   in Loop: Header=BB1_5 Depth=1
	s_or_b64 exec, exec, s[8:9]
	s_add_i32 s10, s10, 1
	s_cmp_eq_u32 s10, s20
	s_cbranch_scc1 .LBB1_56
.LBB1_5:                                ; =>This Loop Header: Depth=1
                                        ;     Child Loop BB1_7 Depth 2
                                        ;     Child Loop BB1_14 Depth 2
                                        ;       Child Loop BB1_18 Depth 3
                                        ;     Child Loop BB1_22 Depth 2
                                        ;     Child Loop BB1_31 Depth 2
	;; [unrolled: 1-line block ×5, first 2 shown]
                                        ;       Child Loop BB1_55 Depth 3
	s_and_saveexec_b64 s[6:7], s[0:1]
	s_cbranch_execz .LBB1_8
; %bb.6:                                ;   in Loop: Header=BB1_5 Depth=1
	s_mov_b64 s[8:9], 0
	v_mov_b32_e32 v20, v32
	v_mov_b32_e32 v22, v31
	;; [unrolled: 1-line block ×3, first 2 shown]
.LBB1_7:                                ;   Parent Loop BB1_5 Depth=1
                                        ; =>  This Inner Loop Header: Depth=2
	v_add_u32_e32 v23, 0x80, v23
	v_cmp_le_i32_e32 vcc, s21, v23
	ds_write_b32 v20, v21
	ds_write_b32 v22, v21
	v_add_u32_e32 v22, 0x200, v22
	s_or_b64 s[8:9], vcc, s[8:9]
	v_add_u32_e32 v20, 0x200, v20
	s_andn2_b64 exec, exec, s[8:9]
	s_cbranch_execnz .LBB1_7
.LBB1_8:                                ;   in Loop: Header=BB1_5 Depth=1
	s_or_b64 exec, exec, s[6:7]
	s_lshl_b32 s49, s10, 10
	v_add_u32_e32 v22, s49, v1
	v_ashrrev_i32_e32 v23, 31, v22
	v_lshlrev_b64 v[22:23], 2, v[22:23]
	v_mov_b32_e32 v20, s17
	v_add_co_u32_e32 v22, vcc, s16, v22
	v_addc_co_u32_e32 v23, vcc, v20, v23, vcc
	global_load_dword v36, v[22:23], off
	s_waitcnt vmcnt(1)
	v_mul_lo_u32 v20, v26, s45
	v_mov_b32_e32 v24, 0
	v_add_u32_e32 v26, 0x3c6ef35f, v20
	v_mul_hi_u32 v20, v26, v28
	v_mul_lo_u32 v20, v20, s23
	v_sub_u32_e32 v20, v26, v20
	v_subrev_u32_e32 v22, s23, v20
	v_cmp_le_u32_e32 vcc, s23, v20
	v_cndmask_b32_e32 v20, v20, v22, vcc
	v_subrev_u32_e32 v22, s23, v20
	v_cmp_le_u32_e32 vcc, s23, v20
	v_cndmask_b32_e32 v34, v20, v22, vcc
	v_sub_u32_e32 v35, s33, v34
	v_cmp_lt_i32_e64 s[6:7], v34, v35
	s_and_saveexec_b64 s[30:31], s[6:7]
	s_cbranch_execnz .LBB1_10
; %bb.9:                                ;   in Loop: Header=BB1_5 Depth=1
	s_or_b64 exec, exec, s[30:31]
	v_cmp_ne_u32_e32 vcc, 0, v24
	s_and_saveexec_b64 s[8:9], vcc
	s_cbranch_execz .LBB1_4
	s_branch .LBB1_20
.LBB1_10:                               ;   in Loop: Header=BB1_5 Depth=1
	v_mov_b32_e32 v24, 0
	s_mov_b64 s[34:35], 0
	v_mov_b32_e32 v25, v34
	s_branch .LBB1_14
.LBB1_11:                               ;   in Loop: Header=BB1_14 Depth=2
	s_or_b64 exec, exec, s[40:41]
	v_add_u32_e32 v24, 1, v24
.LBB1_12:                               ;   in Loop: Header=BB1_14 Depth=2
	s_or_b64 exec, exec, s[38:39]
.LBB1_13:                               ;   in Loop: Header=BB1_14 Depth=2
	s_or_b64 exec, exec, s[36:37]
	v_add_u32_e32 v25, 1, v25
	v_cmp_ge_i32_e32 vcc, v25, v35
	s_or_b64 s[34:35], vcc, s[34:35]
	s_andn2_b64 exec, exec, s[34:35]
	s_cbranch_execz .LBB1_19
.LBB1_14:                               ;   Parent Loop BB1_5 Depth=1
                                        ; =>  This Loop Header: Depth=2
                                        ;       Child Loop BB1_18 Depth 3
	v_cmp_ne_u32_e32 vcc, s23, v25
	s_and_saveexec_b64 s[36:37], vcc
	s_cbranch_execz .LBB1_13
; %bb.15:                               ;   in Loop: Header=BB1_14 Depth=2
	v_add_u32_e32 v20, v25, v33
	v_cmp_gt_u32_e32 vcc, s46, v20
	s_waitcnt lgkmcnt(0)
	s_and_saveexec_b64 s[38:39], vcc
	s_cbranch_execz .LBB1_12
; %bb.16:                               ;   in Loop: Header=BB1_14 Depth=2
	s_and_saveexec_b64 s[40:41], s[0:1]
	s_cbranch_execz .LBB1_11
; %bb.17:                               ;   in Loop: Header=BB1_14 Depth=2
	v_or_b32_e32 v20, s49, v20
	v_lshlrev_b64 v[22:23], 2, v[20:21]
	v_mov_b32_e32 v20, s17
	v_add_co_u32_e32 v22, vcc, s16, v22
	v_addc_co_u32_e32 v23, vcc, v20, v23, vcc
	global_load_dword v20, v[22:23], off
	v_mov_b32_e32 v37, s25
	s_mov_b64 s[42:43], 0
	s_waitcnt vmcnt(0)
	v_mul_lo_u32 v22, v20, s22
	v_mov_b32_e32 v20, v32
	v_ashrrev_i32_e32 v23, 31, v22
	v_add_co_u32_e32 v22, vcc, v27, v22
	v_addc_co_u32_e32 v23, vcc, 0, v23, vcc
	v_lshlrev_b64 v[22:23], 2, v[22:23]
	v_add_co_u32_e32 v22, vcc, s24, v22
	v_addc_co_u32_e32 v23, vcc, v37, v23, vcc
	v_mov_b32_e32 v37, v27
.LBB1_18:                               ;   Parent Loop BB1_5 Depth=1
                                        ;     Parent Loop BB1_14 Depth=2
                                        ; =>    This Inner Loop Header: Depth=3
	global_load_dword v38, v[22:23], off
	ds_read_b32 v39, v20
	v_add_u32_e32 v37, 0x80, v37
	v_add_co_u32_e32 v22, vcc, 0x200, v22
	v_cmp_le_i32_e64 s[8:9], s21, v37
	v_addc_co_u32_e32 v23, vcc, 0, v23, vcc
	s_or_b64 s[42:43], s[8:9], s[42:43]
	s_waitcnt vmcnt(0) lgkmcnt(0)
	v_add_f32_e32 v38, v38, v39
	ds_write_b32 v20, v38
	v_add_u32_e32 v20, 0x200, v20
	s_andn2_b64 exec, exec, s[42:43]
	s_cbranch_execnz .LBB1_18
	s_branch .LBB1_11
.LBB1_19:                               ;   in Loop: Header=BB1_5 Depth=1
	s_or_b64 exec, exec, s[34:35]
	s_or_b64 exec, exec, s[30:31]
	v_cmp_ne_u32_e32 vcc, 0, v24
	s_and_saveexec_b64 s[8:9], vcc
	s_cbranch_execz .LBB1_4
.LBB1_20:                               ;   in Loop: Header=BB1_5 Depth=1
	s_and_saveexec_b64 s[30:31], s[0:1]
	s_cbranch_execz .LBB1_23
; %bb.21:                               ;   in Loop: Header=BB1_5 Depth=1
	v_cvt_f32_i32_e32 v20, v24
	s_mov_b64 s[34:35], 0
	v_mov_b32_e32 v22, v32
	v_mov_b32_e32 v23, v27
.LBB1_22:                               ;   Parent Loop BB1_5 Depth=1
                                        ; =>  This Inner Loop Header: Depth=2
	ds_read_b32 v24, v22
	v_add_u32_e32 v23, 0x80, v23
	s_waitcnt lgkmcnt(0)
	v_div_scale_f32 v25, s[36:37], v20, v20, v24
	v_div_scale_f32 v37, vcc, v24, v20, v24
	v_rcp_f32_e32 v38, v25
	v_fma_f32 v39, -v25, v38, 1.0
	v_fmac_f32_e32 v38, v39, v38
	v_mul_f32_e32 v39, v37, v38
	v_fma_f32 v40, -v25, v39, v37
	v_fmac_f32_e32 v39, v40, v38
	v_fma_f32 v25, -v25, v39, v37
	v_div_fmas_f32 v25, v25, v38, v39
	v_cmp_le_i32_e32 vcc, s21, v23
	s_or_b64 s[34:35], vcc, s[34:35]
	v_div_fixup_f32 v24, v25, v20, v24
	ds_write_b32 v22, v24
	v_add_u32_e32 v22, 0x200, v22
	s_andn2_b64 exec, exec, s[34:35]
	s_cbranch_execnz .LBB1_22
.LBB1_23:                               ;   in Loop: Header=BB1_5 Depth=1
	s_or_b64 exec, exec, s[30:31]
	s_andn2_b64 vcc, exec, s[28:29]
	s_cbranch_vccnz .LBB1_49
; %bb.24:                               ;   in Loop: Header=BB1_5 Depth=1
	s_lshl_b64 s[30:31], s[10:11], 2
	s_add_u32 s30, s16, s30
	s_addc_u32 s31, s17, s31
	s_waitcnt lgkmcnt(0)
	s_load_dword s38, s[30:31], 0x6000
	s_mov_b32 s39, 0
	s_cmp_eq_u32 s39, 0
	s_cbranch_scc1 .LBB1_28
.LBB1_25:                               ;   in Loop: Header=BB1_5 Depth=1
	v_mul_lo_u32 v20, v26, s45
	v_mov_b32_e32 v24, s19
	v_add_u32_e32 v26, 0x3c6ef35f, v20
	v_mul_hi_u32 v20, v26, v29
	v_mul_lo_u32 v20, v20, s13
	v_sub_u32_e32 v20, v26, v20
	v_subrev_u32_e32 v22, s13, v20
	v_cmp_le_u32_e32 vcc, s13, v20
	v_cndmask_b32_e32 v20, v20, v22, vcc
	v_subrev_u32_e32 v22, s13, v20
	v_cmp_le_u32_e32 vcc, s13, v20
	v_cndmask_b32_e32 v20, v20, v22, vcc
	v_lshlrev_b64 v[22:23], 2, v[20:21]
	v_add_co_u32_e32 v22, vcc, s18, v22
	v_addc_co_u32_e32 v23, vcc, v24, v23, vcc
	global_load_dword v20, v[22:23], off
	s_waitcnt vmcnt(0)
	v_cmp_eq_u32_e32 vcc, 0, v20
	s_and_saveexec_b64 s[30:31], vcc
	s_cbranch_execz .LBB1_27
; %bb.26:                               ;   in Loop: Header=BB1_5 Depth=1
	v_mul_hi_u32 v20, v26, v30
	v_mul_lo_u32 v20, v20, s44
	v_sub_u32_e32 v20, v26, v20
	v_subrev_u32_e32 v22, s44, v20
	v_cmp_le_u32_e32 vcc, s44, v20
	v_cndmask_b32_e32 v20, v20, v22, vcc
	v_subrev_u32_e32 v22, s44, v20
	v_cmp_le_u32_e32 vcc, s44, v20
	v_cndmask_b32_e32 v20, v20, v22, vcc
	v_add_u32_e32 v20, 1, v20
.LBB1_27:                               ;   in Loop: Header=BB1_5 Depth=1
	s_or_b64 exec, exec, s[30:31]
	v_cmp_ne_u32_e64 s[34:35], v20, v36
	s_mov_b32 s40, 0
	s_and_saveexec_b64 s[30:31], s[34:35]
	s_cbranch_execnz .LBB1_29
	s_branch .LBB1_47
.LBB1_28:                               ;   in Loop: Header=BB1_5 Depth=1
	s_mov_b64 s[34:35], -1
	s_mov_b32 s40, 1
	s_waitcnt vmcnt(0)
	v_mov_b32_e32 v20, v36
	s_and_saveexec_b64 s[30:31], s[34:35]
	s_cbranch_execz .LBB1_47
.LBB1_29:                               ;   in Loop: Header=BB1_5 Depth=1
	v_mul_lo_u32 v20, v20, s22
	ds_write_b32 v4, v21
	v_add_u32_e32 v22, v27, v20
	v_ashrrev_i32_e32 v23, 31, v22
	s_and_saveexec_b64 s[34:35], s[0:1]
	s_cbranch_execz .LBB1_32
; %bb.30:                               ;   in Loop: Header=BB1_5 Depth=1
	v_lshlrev_b64 v[24:25], 2, v[22:23]
	v_mov_b32_e32 v20, s27
	v_add_co_u32_e32 v24, vcc, s26, v24
	v_addc_co_u32_e32 v25, vcc, v20, v25, vcc
	v_mov_b32_e32 v20, 0
	s_mov_b64 s[36:37], 0
	v_mov_b32_e32 v37, v32
	v_mov_b32_e32 v38, v27
.LBB1_31:                               ;   Parent Loop BB1_5 Depth=1
                                        ; =>  This Inner Loop Header: Depth=2
	global_load_dword v39, v[24:25], off
	ds_read_b32 v40, v37
	v_add_co_u32_e32 v24, vcc, 0x200, v24
	v_add_u32_e32 v38, 0x80, v38
	v_addc_co_u32_e32 v25, vcc, 0, v25, vcc
	v_cmp_le_i32_e32 vcc, s21, v38
	v_add_u32_e32 v37, 0x200, v37
	s_or_b64 s[36:37], vcc, s[36:37]
	s_waitcnt vmcnt(0) lgkmcnt(0)
	v_fmac_f32_e32 v20, v40, v39
	ds_write_b32 v4, v20
	s_andn2_b64 exec, exec, s[36:37]
	s_cbranch_execnz .LBB1_31
.LBB1_32:                               ;   in Loop: Header=BB1_5 Depth=1
	s_or_b64 exec, exec, s[34:35]
	s_waitcnt lgkmcnt(0)
	s_barrier
	s_and_saveexec_b64 s[34:35], s[2:3]
	s_cbranch_execz .LBB1_34
; %bb.33:                               ;   in Loop: Header=BB1_5 Depth=1
	flat_load_dword v20, v[6:7] glc
	s_waitcnt vmcnt(0)
	flat_load_dword v24, v[4:5] glc
	s_waitcnt vmcnt(0) lgkmcnt(0)
	v_add_f32_e32 v20, v20, v24
	flat_store_dword v[4:5], v20
	s_waitcnt vmcnt(0)
.LBB1_34:                               ;   in Loop: Header=BB1_5 Depth=1
	s_or_b64 exec, exec, s[34:35]
	s_waitcnt lgkmcnt(0)
	s_barrier
	s_and_saveexec_b64 s[34:35], s[4:5]
	s_cbranch_execz .LBB1_36
; %bb.35:                               ;   in Loop: Header=BB1_5 Depth=1
	flat_load_dword v20, v[8:9] glc
	s_waitcnt vmcnt(0)
	flat_load_dword v24, v[4:5] glc
	s_waitcnt vmcnt(0) lgkmcnt(0)
	v_add_f32_e32 v20, v20, v24
	flat_store_dword v[4:5], v20
	s_waitcnt vmcnt(0)
	flat_load_dword v20, v[10:11] glc
	s_waitcnt vmcnt(0)
	flat_load_dword v24, v[4:5] glc
	s_waitcnt vmcnt(0) lgkmcnt(0)
	v_add_f32_e32 v20, v20, v24
	flat_store_dword v[4:5], v20
	s_waitcnt vmcnt(0)
	;; [unrolled: 7-line block ×6, first 2 shown]
.LBB1_36:                               ;   in Loop: Header=BB1_5 Depth=1
	s_or_b64 exec, exec, s[34:35]
	s_waitcnt lgkmcnt(0)
	s_barrier
	ds_read_b32 v24, v0
                                        ; implicit-def: $vgpr20
	s_waitcnt lgkmcnt(0)
	v_cmp_nlt_f32_e32 vcc, s47, v24
	s_and_saveexec_b64 s[34:35], vcc
	s_xor_b64 s[34:35], exec, s[34:35]
	s_cbranch_execnz .LBB1_39
; %bb.37:                               ;   in Loop: Header=BB1_5 Depth=1
	s_andn2_saveexec_b64 s[34:35], s[34:35]
	s_cbranch_execnz .LBB1_42
.LBB1_38:                               ;   in Loop: Header=BB1_5 Depth=1
	s_or_b64 exec, exec, s[34:35]
	s_and_b64 exec, exec, s[0:1]
	s_cbranch_execnz .LBB1_43
	s_branch .LBB1_47
.LBB1_39:                               ;   in Loop: Header=BB1_5 Depth=1
	v_cmp_ngt_f32_e32 vcc, s48, v24
	v_cvt_f32_ubyte0_e32 v20, s40
	s_and_saveexec_b64 s[36:37], vcc
	s_cbranch_execz .LBB1_41
; %bb.40:                               ;   in Loop: Header=BB1_5 Depth=1
	v_add_f32_e32 v24, 0x40c00000, v24
	v_mul_f32_e32 v24, 0x42a60000, v24
	v_cvt_i32_f32_e32 v24, v24
	s_getpc_b64 s[42:43]
	s_add_u32 s42, s42, expTable@rel32@lo+4
	s_addc_u32 s43, s43, expTable@rel32@hi+12
	v_mov_b32_e32 v37, s43
	v_ashrrev_i32_e32 v25, 31, v24
	v_lshlrev_b64 v[24:25], 2, v[24:25]
	v_add_co_u32_e32 v24, vcc, s42, v24
	v_addc_co_u32_e32 v25, vcc, v37, v25, vcc
	global_load_dword v24, v[24:25], off
	s_waitcnt vmcnt(0)
	v_sub_f32_e32 v20, v20, v24
.LBB1_41:                               ;   in Loop: Header=BB1_5 Depth=1
	s_or_b64 exec, exec, s[36:37]
	s_andn2_saveexec_b64 s[34:35], s[34:35]
	s_cbranch_execz .LBB1_38
.LBB1_42:                               ;   in Loop: Header=BB1_5 Depth=1
	s_add_i32 s40, s40, -1
	v_cvt_f32_i32_e32 v20, s40
	s_or_b64 exec, exec, s[34:35]
	s_and_b64 exec, exec, s[0:1]
	s_cbranch_execz .LBB1_47
.LBB1_43:                               ;   in Loop: Header=BB1_5 Depth=1
	v_lshlrev_b64 v[22:23], 2, v[22:23]
	v_mov_b32_e32 v24, s27
	v_add_co_u32_e32 v22, vcc, s26, v22
	v_addc_co_u32_e32 v23, vcc, v24, v23, vcc
	v_mov_b32_e32 v25, v23
	v_mul_f32_e32 v20, s38, v20
	s_mov_b64 s[34:35], 0
	v_mov_b32_e32 v24, v22
	v_mov_b32_e32 v37, v31
	;; [unrolled: 1-line block ×3, first 2 shown]
.LBB1_44:                               ;   Parent Loop BB1_5 Depth=1
                                        ; =>  This Inner Loop Header: Depth=2
	global_load_dword v39, v[24:25], off
	ds_read_b32 v40, v37
	v_add_co_u32_e32 v24, vcc, 0x200, v24
	v_add_u32_e32 v38, 0x80, v38
	v_addc_co_u32_e32 v25, vcc, 0, v25, vcc
	v_cmp_le_i32_e32 vcc, s21, v38
	s_or_b64 s[34:35], vcc, s[34:35]
	s_waitcnt vmcnt(0) lgkmcnt(0)
	v_fmac_f32_e32 v40, v20, v39
	ds_write_b32 v37, v40
	v_add_u32_e32 v37, 0x200, v37
	s_andn2_b64 exec, exec, s[34:35]
	s_cbranch_execnz .LBB1_44
; %bb.45:                               ;   in Loop: Header=BB1_5 Depth=1
	s_or_b64 exec, exec, s[34:35]
	s_mov_b64 s[34:35], 0
	v_mov_b32_e32 v24, v32
	v_mov_b32_e32 v25, v27
.LBB1_46:                               ;   Parent Loop BB1_5 Depth=1
                                        ; =>  This Inner Loop Header: Depth=2
	global_load_dword v37, v[22:23], off
	ds_read_b32 v38, v24
	v_add_u32_e32 v25, 0x80, v25
	v_cmp_le_i32_e32 vcc, s21, v25
	s_or_b64 s[34:35], vcc, s[34:35]
	v_add_u32_e32 v24, 0x200, v24
	s_waitcnt vmcnt(0) lgkmcnt(0)
	v_fmac_f32_e32 v37, v20, v38
	global_store_dword v[22:23], v37, off
	v_add_co_u32_e32 v22, vcc, 0x200, v22
	v_addc_co_u32_e32 v23, vcc, 0, v23, vcc
	s_andn2_b64 exec, exec, s[34:35]
	s_cbranch_execnz .LBB1_46
.LBB1_47:                               ;   in Loop: Header=BB1_5 Depth=1
	s_or_b64 exec, exec, s[30:31]
	s_add_i32 s30, s39, 1
	s_cmp_lg_u32 s39, s12
	s_cbranch_scc0 .LBB1_49
; %bb.48:                               ;   in Loop: Header=BB1_5 Depth=1
	s_mov_b32 s39, s30
	s_cmp_eq_u32 s39, 0
	s_cbranch_scc0 .LBB1_25
	s_branch .LBB1_28
.LBB1_49:                               ;   in Loop: Header=BB1_5 Depth=1
	s_and_saveexec_b64 s[30:31], s[6:7]
	s_cbranch_execz .LBB1_3
; %bb.50:                               ;   in Loop: Header=BB1_5 Depth=1
	s_mov_b64 s[6:7], 0
	s_branch .LBB1_52
.LBB1_51:                               ;   in Loop: Header=BB1_52 Depth=2
	s_or_b64 exec, exec, s[34:35]
	v_add_u32_e32 v34, 1, v34
	v_cmp_ge_i32_e32 vcc, v34, v35
	s_or_b64 s[6:7], vcc, s[6:7]
	s_andn2_b64 exec, exec, s[6:7]
	s_cbranch_execz .LBB1_3
.LBB1_52:                               ;   Parent Loop BB1_5 Depth=1
                                        ; =>  This Loop Header: Depth=2
                                        ;       Child Loop BB1_55 Depth 3
	v_cmp_ne_u32_e32 vcc, s23, v34
	s_and_saveexec_b64 s[34:35], vcc
	s_cbranch_execz .LBB1_51
; %bb.53:                               ;   in Loop: Header=BB1_52 Depth=2
	v_add_u32_e32 v20, v34, v33
	v_cmp_gt_u32_e32 vcc, s46, v20
	s_and_b64 s[36:37], vcc, s[14:15]
	s_and_b64 exec, exec, s[36:37]
	s_cbranch_execz .LBB1_51
; %bb.54:                               ;   in Loop: Header=BB1_52 Depth=2
	v_or_b32_e32 v20, s49, v20
	v_lshlrev_b64 v[22:23], 2, v[20:21]
	v_mov_b32_e32 v20, s17
	v_add_co_u32_e32 v22, vcc, s16, v22
	v_addc_co_u32_e32 v23, vcc, v20, v23, vcc
	global_load_dword v20, v[22:23], off
	v_mov_b32_e32 v24, s25
	s_mov_b64 s[36:37], 0
	s_waitcnt vmcnt(0)
	v_mul_lo_u32 v22, v20, s22
	v_mov_b32_e32 v20, v31
	v_ashrrev_i32_e32 v23, 31, v22
	v_add_co_u32_e32 v22, vcc, v27, v22
	v_addc_co_u32_e32 v23, vcc, 0, v23, vcc
	v_lshlrev_b64 v[22:23], 2, v[22:23]
	v_add_co_u32_e32 v22, vcc, s24, v22
	v_addc_co_u32_e32 v23, vcc, v24, v23, vcc
	v_mov_b32_e32 v24, v27
.LBB1_55:                               ;   Parent Loop BB1_5 Depth=1
                                        ;     Parent Loop BB1_52 Depth=2
                                        ; =>    This Inner Loop Header: Depth=3
	global_load_dword v25, v[22:23], off
	ds_read_b32 v36, v20
	v_add_u32_e32 v24, 0x80, v24
	v_cmp_le_i32_e32 vcc, s21, v24
	s_or_b64 s[36:37], vcc, s[36:37]
	v_add_u32_e32 v20, 0x200, v20
	s_waitcnt vmcnt(0) lgkmcnt(0)
	v_add_f32_e32 v25, v36, v25
	global_store_dword v[22:23], v25, off
	v_add_co_u32_e32 v22, vcc, 0x200, v22
	v_addc_co_u32_e32 v23, vcc, 0, v23, vcc
	s_andn2_b64 exec, exec, s[36:37]
	s_cbranch_execnz .LBB1_55
	s_branch .LBB1_51
.LBB1_56:
	v_cmp_eq_u32_e32 vcc, 0, v27
	s_and_b64 exec, exec, vcc
	s_cbranch_execz .LBB1_58
; %bb.57:
	s_waitcnt vmcnt(0)
	global_store_dword v[2:3], v26, off
.LBB1_58:
	s_endpgm
	.section	.rodata,"a",@progbits
	.p2align	6, 0x0
	.amdhsa_kernel _Z11device_cbowiiiiiiiPKiS0_PfS1_Pj
		.amdhsa_group_segment_fixed_size 0
		.amdhsa_private_segment_fixed_size 0
		.amdhsa_kernarg_size 328
		.amdhsa_user_sgpr_count 6
		.amdhsa_user_sgpr_private_segment_buffer 1
		.amdhsa_user_sgpr_dispatch_ptr 0
		.amdhsa_user_sgpr_queue_ptr 0
		.amdhsa_user_sgpr_kernarg_segment_ptr 1
		.amdhsa_user_sgpr_dispatch_id 0
		.amdhsa_user_sgpr_flat_scratch_init 0
		.amdhsa_user_sgpr_private_segment_size 0
		.amdhsa_uses_dynamic_stack 0
		.amdhsa_system_sgpr_private_segment_wavefront_offset 0
		.amdhsa_system_sgpr_workgroup_id_x 1
		.amdhsa_system_sgpr_workgroup_id_y 0
		.amdhsa_system_sgpr_workgroup_id_z 0
		.amdhsa_system_sgpr_workgroup_info 0
		.amdhsa_system_vgpr_workitem_id 0
		.amdhsa_next_free_vgpr 41
		.amdhsa_next_free_sgpr 50
		.amdhsa_reserve_vcc 1
		.amdhsa_reserve_flat_scratch 0
		.amdhsa_float_round_mode_32 0
		.amdhsa_float_round_mode_16_64 0
		.amdhsa_float_denorm_mode_32 3
		.amdhsa_float_denorm_mode_16_64 3
		.amdhsa_dx10_clamp 1
		.amdhsa_ieee_mode 1
		.amdhsa_fp16_overflow 0
		.amdhsa_exception_fp_ieee_invalid_op 0
		.amdhsa_exception_fp_denorm_src 0
		.amdhsa_exception_fp_ieee_div_zero 0
		.amdhsa_exception_fp_ieee_overflow 0
		.amdhsa_exception_fp_ieee_underflow 0
		.amdhsa_exception_fp_ieee_inexact 0
		.amdhsa_exception_int_div_zero 0
	.end_amdhsa_kernel
	.text
.Lfunc_end1:
	.size	_Z11device_cbowiiiiiiiPKiS0_PfS1_Pj, .Lfunc_end1-_Z11device_cbowiiiiiiiPKiS0_PfS1_Pj
                                        ; -- End function
	.set _Z11device_cbowiiiiiiiPKiS0_PfS1_Pj.num_vgpr, 41
	.set _Z11device_cbowiiiiiiiPKiS0_PfS1_Pj.num_agpr, 0
	.set _Z11device_cbowiiiiiiiPKiS0_PfS1_Pj.numbered_sgpr, 50
	.set _Z11device_cbowiiiiiiiPKiS0_PfS1_Pj.num_named_barrier, 0
	.set _Z11device_cbowiiiiiiiPKiS0_PfS1_Pj.private_seg_size, 0
	.set _Z11device_cbowiiiiiiiPKiS0_PfS1_Pj.uses_vcc, 1
	.set _Z11device_cbowiiiiiiiPKiS0_PfS1_Pj.uses_flat_scratch, 0
	.set _Z11device_cbowiiiiiiiPKiS0_PfS1_Pj.has_dyn_sized_stack, 0
	.set _Z11device_cbowiiiiiiiPKiS0_PfS1_Pj.has_recursion, 0
	.set _Z11device_cbowiiiiiiiPKiS0_PfS1_Pj.has_indirect_call, 0
	.section	.AMDGPU.csdata,"",@progbits
; Kernel info:
; codeLenInByte = 2632
; TotalNumSgprs: 54
; NumVgprs: 41
; ScratchSize: 0
; MemoryBound: 0
; FloatMode: 240
; IeeeMode: 1
; LDSByteSize: 0 bytes/workgroup (compile time only)
; SGPRBlocks: 6
; VGPRBlocks: 10
; NumSGPRsForWavesPerEU: 54
; NumVGPRsForWavesPerEU: 41
; Occupancy: 5
; WaveLimiterHint : 0
; COMPUTE_PGM_RSRC2:SCRATCH_EN: 0
; COMPUTE_PGM_RSRC2:USER_SGPR: 6
; COMPUTE_PGM_RSRC2:TRAP_HANDLER: 0
; COMPUTE_PGM_RSRC2:TGID_X_EN: 1
; COMPUTE_PGM_RSRC2:TGID_Y_EN: 0
; COMPUTE_PGM_RSRC2:TGID_Z_EN: 0
; COMPUTE_PGM_RSRC2:TIDIG_COMP_CNT: 0
	.section	.AMDGPU.gpr_maximums,"",@progbits
	.set amdgpu.max_num_vgpr, 0
	.set amdgpu.max_num_agpr, 0
	.set amdgpu.max_num_sgpr, 0
	.section	.AMDGPU.csdata,"",@progbits
	.protected	expTable                ; @expTable
	.type	expTable,@object
	.section	.rodata,"a",@progbits
	.globl	expTable
	.p2align	4, 0x0
expTable:
	.zero	4000
	.size	expTable, 4000

	.type	__hip_cuid_2e6c1b2f77930040,@object ; @__hip_cuid_2e6c1b2f77930040
	.section	.bss,"aw",@nobits
	.globl	__hip_cuid_2e6c1b2f77930040
__hip_cuid_2e6c1b2f77930040:
	.byte	0                               ; 0x0
	.size	__hip_cuid_2e6c1b2f77930040, 1

	.ident	"AMD clang version 22.0.0git (https://github.com/RadeonOpenCompute/llvm-project roc-7.2.4 26084 f58b06dce1f9c15707c5f808fd002e18c2accf7e)"
	.section	".note.GNU-stack","",@progbits
	.addrsig
	.addrsig_sym expTable
	.addrsig_sym shared
	.addrsig_sym __hip_cuid_2e6c1b2f77930040
	.amdgpu_metadata
---
amdhsa.kernels:
  - .args:
      - .address_space:  global
        .offset:         0
        .size:           8
        .value_kind:     global_buffer
      - .offset:         8
        .size:           4
        .value_kind:     by_value
      - .offset:         16
        .size:           4
        .value_kind:     hidden_block_count_x
      - .offset:         20
        .size:           4
        .value_kind:     hidden_block_count_y
      - .offset:         24
        .size:           4
        .value_kind:     hidden_block_count_z
      - .offset:         28
        .size:           2
        .value_kind:     hidden_group_size_x
      - .offset:         30
        .size:           2
        .value_kind:     hidden_group_size_y
      - .offset:         32
        .size:           2
        .value_kind:     hidden_group_size_z
      - .offset:         34
        .size:           2
        .value_kind:     hidden_remainder_x
      - .offset:         36
        .size:           2
        .value_kind:     hidden_remainder_y
      - .offset:         38
        .size:           2
        .value_kind:     hidden_remainder_z
      - .offset:         56
        .size:           8
        .value_kind:     hidden_global_offset_x
      - .offset:         64
        .size:           8
        .value_kind:     hidden_global_offset_y
      - .offset:         72
        .size:           8
        .value_kind:     hidden_global_offset_z
      - .offset:         80
        .size:           2
        .value_kind:     hidden_grid_dims
    .group_segment_fixed_size: 0
    .kernarg_segment_align: 8
    .kernarg_segment_size: 272
    .language:       OpenCL C
    .language_version:
      - 2
      - 0
    .max_flat_workgroup_size: 1024
    .name:           _Z13device_memsetPfi
    .private_segment_fixed_size: 0
    .sgpr_count:     11
    .sgpr_spill_count: 0
    .symbol:         _Z13device_memsetPfi.kd
    .uniform_work_group_size: 1
    .uses_dynamic_stack: false
    .vgpr_count:     3
    .vgpr_spill_count: 0
    .wavefront_size: 64
  - .args:
      - .offset:         0
        .size:           4
        .value_kind:     by_value
      - .offset:         4
        .size:           4
        .value_kind:     by_value
      - .offset:         8
        .size:           4
        .value_kind:     by_value
      - .offset:         12
        .size:           4
        .value_kind:     by_value
      - .offset:         16
        .size:           4
        .value_kind:     by_value
      - .offset:         20
        .size:           4
        .value_kind:     by_value
      - .offset:         24
        .size:           4
        .value_kind:     by_value
      - .actual_access:  read_only
        .address_space:  global
        .offset:         32
        .size:           8
        .value_kind:     global_buffer
      - .actual_access:  read_only
        .address_space:  global
        .offset:         40
        .size:           8
        .value_kind:     global_buffer
      - .address_space:  global
        .offset:         48
        .size:           8
        .value_kind:     global_buffer
      - .address_space:  global
        .offset:         56
        .size:           8
        .value_kind:     global_buffer
      - .address_space:  global
        .offset:         64
        .size:           8
        .value_kind:     global_buffer
      - .offset:         72
        .size:           4
        .value_kind:     hidden_block_count_x
      - .offset:         76
        .size:           4
        .value_kind:     hidden_block_count_y
      - .offset:         80
        .size:           4
        .value_kind:     hidden_block_count_z
      - .offset:         84
        .size:           2
        .value_kind:     hidden_group_size_x
      - .offset:         86
        .size:           2
        .value_kind:     hidden_group_size_y
      - .offset:         88
        .size:           2
        .value_kind:     hidden_group_size_z
      - .offset:         90
        .size:           2
        .value_kind:     hidden_remainder_x
      - .offset:         92
        .size:           2
        .value_kind:     hidden_remainder_y
      - .offset:         94
        .size:           2
        .value_kind:     hidden_remainder_z
      - .offset:         112
        .size:           8
        .value_kind:     hidden_global_offset_x
      - .offset:         120
        .size:           8
        .value_kind:     hidden_global_offset_y
      - .offset:         128
        .size:           8
        .value_kind:     hidden_global_offset_z
      - .offset:         136
        .size:           2
        .value_kind:     hidden_grid_dims
      - .offset:         192
        .size:           4
        .value_kind:     hidden_dynamic_lds_size
    .group_segment_fixed_size: 0
    .kernarg_segment_align: 8
    .kernarg_segment_size: 328
    .language:       OpenCL C
    .language_version:
      - 2
      - 0
    .max_flat_workgroup_size: 1024
    .name:           _Z11device_cbowiiiiiiiPKiS0_PfS1_Pj
    .private_segment_fixed_size: 0
    .sgpr_count:     54
    .sgpr_spill_count: 0
    .symbol:         _Z11device_cbowiiiiiiiPKiS0_PfS1_Pj.kd
    .uniform_work_group_size: 1
    .uses_dynamic_stack: false
    .vgpr_count:     41
    .vgpr_spill_count: 0
    .wavefront_size: 64
amdhsa.target:   amdgcn-amd-amdhsa--gfx906
amdhsa.version:
  - 1
  - 2
...

	.end_amdgpu_metadata
